;; amdgpu-corpus repo=ROCm/rocFFT kind=compiled arch=gfx1030 opt=O3
	.text
	.amdgcn_target "amdgcn-amd-amdhsa--gfx1030"
	.amdhsa_code_object_version 6
	.protected	fft_rtc_fwd_len297_factors_9_3_11_wgs_231_tpt_33_halfLds_dp_op_CI_CI_sbrr_dirReg ; -- Begin function fft_rtc_fwd_len297_factors_9_3_11_wgs_231_tpt_33_halfLds_dp_op_CI_CI_sbrr_dirReg
	.globl	fft_rtc_fwd_len297_factors_9_3_11_wgs_231_tpt_33_halfLds_dp_op_CI_CI_sbrr_dirReg
	.p2align	8
	.type	fft_rtc_fwd_len297_factors_9_3_11_wgs_231_tpt_33_halfLds_dp_op_CI_CI_sbrr_dirReg,@function
fft_rtc_fwd_len297_factors_9_3_11_wgs_231_tpt_33_halfLds_dp_op_CI_CI_sbrr_dirReg: ; @fft_rtc_fwd_len297_factors_9_3_11_wgs_231_tpt_33_halfLds_dp_op_CI_CI_sbrr_dirReg
; %bb.0:
	s_clause 0x1
	s_load_dwordx4 s[16:19], s[4:5], 0x18
	s_load_dwordx4 s[12:15], s[4:5], 0x0
	v_mul_u32_u24_e32 v1, 0x7c2, v0
	v_mov_b32_e32 v4, 0
	v_mov_b32_e32 v5, 0
	s_load_dwordx4 s[8:11], s[4:5], 0x58
	s_waitcnt lgkmcnt(0)
	s_load_dwordx2 s[20:21], s[16:17], 0x0
	s_load_dwordx2 s[2:3], s[18:19], 0x0
	v_lshrrev_b32_e32 v2, 16, v1
	v_mov_b32_e32 v1, 0
	v_cmp_lt_u64_e64 s0, s[14:15], 2
	v_mov_b32_e32 v41, v5
	v_mov_b32_e32 v40, v4
	v_mad_u64_u32 v[36:37], null, s6, 7, v[2:3]
	v_mov_b32_e32 v37, v1
	s_and_b32 vcc_lo, exec_lo, s0
	v_mov_b32_e32 v43, v37
	v_mov_b32_e32 v42, v36
	s_cbranch_vccnz .LBB0_8
; %bb.1:
	s_load_dwordx2 s[0:1], s[4:5], 0x10
	v_mov_b32_e32 v4, 0
	v_mov_b32_e32 v5, 0
	s_add_u32 s6, s18, 8
	v_mov_b32_e32 v6, v36
	s_addc_u32 s7, s19, 0
	v_mov_b32_e32 v7, v37
	v_mov_b32_e32 v41, v5
	s_add_u32 s22, s16, 8
	v_mov_b32_e32 v40, v4
	s_addc_u32 s23, s17, 0
	s_mov_b64 s[26:27], 1
	s_waitcnt lgkmcnt(0)
	s_add_u32 s24, s0, 8
	s_addc_u32 s25, s1, 0
.LBB0_2:                                ; =>This Inner Loop Header: Depth=1
	s_load_dwordx2 s[28:29], s[24:25], 0x0
                                        ; implicit-def: $vgpr42_vgpr43
	s_mov_b32 s0, exec_lo
	s_waitcnt lgkmcnt(0)
	v_or_b32_e32 v2, s29, v7
	v_cmpx_ne_u64_e32 0, v[1:2]
	s_xor_b32 s1, exec_lo, s0
	s_cbranch_execz .LBB0_4
; %bb.3:                                ;   in Loop: Header=BB0_2 Depth=1
	v_cvt_f32_u32_e32 v2, s28
	v_cvt_f32_u32_e32 v3, s29
	s_sub_u32 s0, 0, s28
	s_subb_u32 s30, 0, s29
	v_fmac_f32_e32 v2, 0x4f800000, v3
	v_rcp_f32_e32 v2, v2
	v_mul_f32_e32 v2, 0x5f7ffffc, v2
	v_mul_f32_e32 v3, 0x2f800000, v2
	v_trunc_f32_e32 v3, v3
	v_fmac_f32_e32 v2, 0xcf800000, v3
	v_cvt_u32_f32_e32 v3, v3
	v_cvt_u32_f32_e32 v2, v2
	v_mul_lo_u32 v8, s0, v3
	v_mul_hi_u32 v9, s0, v2
	v_mul_lo_u32 v10, s30, v2
	v_add_nc_u32_e32 v8, v9, v8
	v_mul_lo_u32 v9, s0, v2
	v_add_nc_u32_e32 v8, v8, v10
	v_mul_hi_u32 v10, v2, v9
	v_mul_lo_u32 v11, v2, v8
	v_mul_hi_u32 v12, v2, v8
	v_mul_hi_u32 v13, v3, v9
	v_mul_lo_u32 v9, v3, v9
	v_mul_hi_u32 v14, v3, v8
	v_mul_lo_u32 v8, v3, v8
	v_add_co_u32 v10, vcc_lo, v10, v11
	v_add_co_ci_u32_e32 v11, vcc_lo, 0, v12, vcc_lo
	v_add_co_u32 v9, vcc_lo, v10, v9
	v_add_co_ci_u32_e32 v9, vcc_lo, v11, v13, vcc_lo
	v_add_co_ci_u32_e32 v10, vcc_lo, 0, v14, vcc_lo
	v_add_co_u32 v8, vcc_lo, v9, v8
	v_add_co_ci_u32_e32 v9, vcc_lo, 0, v10, vcc_lo
	v_add_co_u32 v2, vcc_lo, v2, v8
	v_add_co_ci_u32_e32 v3, vcc_lo, v3, v9, vcc_lo
	v_mul_hi_u32 v8, s0, v2
	v_mul_lo_u32 v10, s30, v2
	v_mul_lo_u32 v9, s0, v3
	v_add_nc_u32_e32 v8, v8, v9
	v_mul_lo_u32 v9, s0, v2
	v_add_nc_u32_e32 v8, v8, v10
	v_mul_hi_u32 v10, v2, v9
	v_mul_lo_u32 v11, v2, v8
	v_mul_hi_u32 v12, v2, v8
	v_mul_hi_u32 v13, v3, v9
	v_mul_lo_u32 v9, v3, v9
	v_mul_hi_u32 v14, v3, v8
	v_mul_lo_u32 v8, v3, v8
	v_add_co_u32 v10, vcc_lo, v10, v11
	v_add_co_ci_u32_e32 v11, vcc_lo, 0, v12, vcc_lo
	v_add_co_u32 v9, vcc_lo, v10, v9
	v_add_co_ci_u32_e32 v9, vcc_lo, v11, v13, vcc_lo
	v_add_co_ci_u32_e32 v10, vcc_lo, 0, v14, vcc_lo
	v_add_co_u32 v8, vcc_lo, v9, v8
	v_add_co_ci_u32_e32 v9, vcc_lo, 0, v10, vcc_lo
	v_add_co_u32 v8, vcc_lo, v2, v8
	v_add_co_ci_u32_e32 v10, vcc_lo, v3, v9, vcc_lo
	v_mul_hi_u32 v12, v6, v8
	v_mad_u64_u32 v[8:9], null, v7, v8, 0
	v_mad_u64_u32 v[2:3], null, v6, v10, 0
	v_mad_u64_u32 v[10:11], null, v7, v10, 0
	v_add_co_u32 v2, vcc_lo, v12, v2
	v_add_co_ci_u32_e32 v3, vcc_lo, 0, v3, vcc_lo
	v_add_co_u32 v2, vcc_lo, v2, v8
	v_add_co_ci_u32_e32 v2, vcc_lo, v3, v9, vcc_lo
	v_add_co_ci_u32_e32 v3, vcc_lo, 0, v11, vcc_lo
	v_add_co_u32 v8, vcc_lo, v2, v10
	v_add_co_ci_u32_e32 v9, vcc_lo, 0, v3, vcc_lo
	v_mul_lo_u32 v10, s29, v8
	v_mad_u64_u32 v[2:3], null, s28, v8, 0
	v_mul_lo_u32 v11, s28, v9
	v_sub_co_u32 v2, vcc_lo, v6, v2
	v_add3_u32 v3, v3, v11, v10
	v_sub_nc_u32_e32 v10, v7, v3
	v_subrev_co_ci_u32_e64 v10, s0, s29, v10, vcc_lo
	v_add_co_u32 v11, s0, v8, 2
	v_add_co_ci_u32_e64 v12, s0, 0, v9, s0
	v_sub_co_u32 v13, s0, v2, s28
	v_sub_co_ci_u32_e32 v3, vcc_lo, v7, v3, vcc_lo
	v_subrev_co_ci_u32_e64 v10, s0, 0, v10, s0
	v_cmp_le_u32_e32 vcc_lo, s28, v13
	v_cmp_eq_u32_e64 s0, s29, v3
	v_cndmask_b32_e64 v13, 0, -1, vcc_lo
	v_cmp_le_u32_e32 vcc_lo, s29, v10
	v_cndmask_b32_e64 v14, 0, -1, vcc_lo
	v_cmp_le_u32_e32 vcc_lo, s28, v2
	;; [unrolled: 2-line block ×3, first 2 shown]
	v_cndmask_b32_e64 v15, 0, -1, vcc_lo
	v_cmp_eq_u32_e32 vcc_lo, s29, v10
	v_cndmask_b32_e64 v2, v15, v2, s0
	v_cndmask_b32_e32 v10, v14, v13, vcc_lo
	v_add_co_u32 v13, vcc_lo, v8, 1
	v_add_co_ci_u32_e32 v14, vcc_lo, 0, v9, vcc_lo
	v_cmp_ne_u32_e32 vcc_lo, 0, v10
	v_cndmask_b32_e32 v3, v14, v12, vcc_lo
	v_cndmask_b32_e32 v10, v13, v11, vcc_lo
	v_cmp_ne_u32_e32 vcc_lo, 0, v2
	v_cndmask_b32_e32 v43, v9, v3, vcc_lo
	v_cndmask_b32_e32 v42, v8, v10, vcc_lo
.LBB0_4:                                ;   in Loop: Header=BB0_2 Depth=1
	s_andn2_saveexec_b32 s0, s1
	s_cbranch_execz .LBB0_6
; %bb.5:                                ;   in Loop: Header=BB0_2 Depth=1
	v_cvt_f32_u32_e32 v2, s28
	s_sub_i32 s1, 0, s28
	v_mov_b32_e32 v43, v1
	v_rcp_iflag_f32_e32 v2, v2
	v_mul_f32_e32 v2, 0x4f7ffffe, v2
	v_cvt_u32_f32_e32 v2, v2
	v_mul_lo_u32 v3, s1, v2
	v_mul_hi_u32 v3, v2, v3
	v_add_nc_u32_e32 v2, v2, v3
	v_mul_hi_u32 v2, v6, v2
	v_mul_lo_u32 v3, v2, s28
	v_add_nc_u32_e32 v8, 1, v2
	v_sub_nc_u32_e32 v3, v6, v3
	v_subrev_nc_u32_e32 v9, s28, v3
	v_cmp_le_u32_e32 vcc_lo, s28, v3
	v_cndmask_b32_e32 v3, v3, v9, vcc_lo
	v_cndmask_b32_e32 v2, v2, v8, vcc_lo
	v_cmp_le_u32_e32 vcc_lo, s28, v3
	v_add_nc_u32_e32 v8, 1, v2
	v_cndmask_b32_e32 v42, v2, v8, vcc_lo
.LBB0_6:                                ;   in Loop: Header=BB0_2 Depth=1
	s_or_b32 exec_lo, exec_lo, s0
	v_mul_lo_u32 v8, v43, s28
	v_mul_lo_u32 v9, v42, s29
	s_load_dwordx2 s[0:1], s[22:23], 0x0
	v_mad_u64_u32 v[2:3], null, v42, s28, 0
	s_load_dwordx2 s[28:29], s[6:7], 0x0
	s_add_u32 s26, s26, 1
	s_addc_u32 s27, s27, 0
	s_add_u32 s6, s6, 8
	s_addc_u32 s7, s7, 0
	s_add_u32 s22, s22, 8
	v_add3_u32 v3, v3, v9, v8
	v_sub_co_u32 v2, vcc_lo, v6, v2
	s_addc_u32 s23, s23, 0
	s_add_u32 s24, s24, 8
	v_sub_co_ci_u32_e32 v3, vcc_lo, v7, v3, vcc_lo
	s_addc_u32 s25, s25, 0
	s_waitcnt lgkmcnt(0)
	v_mul_lo_u32 v6, s0, v3
	v_mul_lo_u32 v7, s1, v2
	v_mad_u64_u32 v[4:5], null, s0, v2, v[4:5]
	v_mul_lo_u32 v3, s28, v3
	v_mul_lo_u32 v8, s29, v2
	v_mad_u64_u32 v[40:41], null, s28, v2, v[40:41]
	v_cmp_ge_u64_e64 s0, s[26:27], s[14:15]
	v_add3_u32 v5, v7, v5, v6
	v_add3_u32 v41, v8, v41, v3
	s_and_b32 vcc_lo, exec_lo, s0
	s_cbranch_vccnz .LBB0_8
; %bb.7:                                ;   in Loop: Header=BB0_2 Depth=1
	v_mov_b32_e32 v6, v42
	v_mov_b32_e32 v7, v43
	s_branch .LBB0_2
.LBB0_8:
	s_load_dwordx2 s[0:1], s[4:5], 0x28
	v_mul_hi_u32 v1, 0x7c1f07d, v0
	s_lshl_b64 s[6:7], s[14:15], 3
                                        ; implicit-def: $vgpr56
                                        ; implicit-def: $vgpr37
                                        ; implicit-def: $vgpr38
	s_add_u32 s4, s18, s6
	s_addc_u32 s5, s19, s7
	s_waitcnt lgkmcnt(0)
	v_cmp_gt_u64_e32 vcc_lo, s[0:1], v[42:43]
	v_cmp_le_u64_e64 s0, s[0:1], v[42:43]
	s_and_saveexec_b32 s1, s0
	s_xor_b32 s0, exec_lo, s1
; %bb.9:
	v_mul_u32_u24_e32 v1, 33, v1
                                        ; implicit-def: $vgpr4_vgpr5
	v_sub_nc_u32_e32 v56, v0, v1
                                        ; implicit-def: $vgpr1
                                        ; implicit-def: $vgpr0
	v_add_nc_u32_e32 v37, 33, v56
	v_add_nc_u32_e32 v38, 0x42, v56
; %bb.10:
	s_or_saveexec_b32 s1, s0
                                        ; implicit-def: $vgpr34_vgpr35
                                        ; implicit-def: $vgpr30_vgpr31
                                        ; implicit-def: $vgpr26_vgpr27
                                        ; implicit-def: $vgpr6_vgpr7
                                        ; implicit-def: $vgpr10_vgpr11
                                        ; implicit-def: $vgpr18_vgpr19
                                        ; implicit-def: $vgpr22_vgpr23
                                        ; implicit-def: $vgpr14_vgpr15
                                        ; implicit-def: $vgpr2_vgpr3
	s_xor_b32 exec_lo, exec_lo, s1
	s_cbranch_execz .LBB0_12
; %bb.11:
	s_add_u32 s6, s16, s6
	s_addc_u32 s7, s17, s7
	v_mul_u32_u24_e32 v1, 33, v1
	s_load_dwordx2 s[6:7], s[6:7], 0x0
	v_lshlrev_b64 v[4:5], 4, v[4:5]
	v_sub_nc_u32_e32 v56, v0, v1
	v_add_nc_u32_e32 v37, 33, v56
	v_mad_u64_u32 v[0:1], null, s20, v56, 0
	v_add_nc_u32_e32 v38, 0x42, v56
	v_add_nc_u32_e32 v16, 0x63, v56
	v_mad_u64_u32 v[2:3], null, s20, v37, 0
	v_add_nc_u32_e32 v17, 0x84, v56
	v_mad_u64_u32 v[6:7], null, s20, v38, 0
	v_mad_u64_u32 v[8:9], null, s20, v16, 0
	s_waitcnt lgkmcnt(0)
	v_mul_lo_u32 v14, s7, v42
	v_mul_lo_u32 v15, s6, v43
	v_mad_u64_u32 v[10:11], null, s6, v42, 0
	v_mad_u64_u32 v[12:13], null, s21, v56, v[1:2]
	v_mov_b32_e32 v1, v3
	v_mov_b32_e32 v3, v7
	;; [unrolled: 1-line block ×3, first 2 shown]
	v_mad_u64_u32 v[24:25], null, s20, v17, 0
	v_add3_u32 v11, v11, v15, v14
	v_mad_u64_u32 v[13:14], null, s21, v37, v[1:2]
	v_mov_b32_e32 v1, v12
	v_mad_u64_u32 v[14:15], null, s21, v38, v[3:4]
	v_lshlrev_b64 v[9:10], 4, v[10:11]
	v_mad_u64_u32 v[11:12], null, s21, v16, v[7:8]
	v_mov_b32_e32 v3, v13
	v_lshlrev_b64 v[0:1], 4, v[0:1]
	v_add_nc_u32_e32 v16, 0xa5, v56
	v_add_co_u32 v9, s0, s8, v9
	v_add_co_ci_u32_e64 v10, s0, s9, v10, s0
	v_lshlrev_b64 v[2:3], 4, v[2:3]
	v_add_co_u32 v33, s0, v9, v4
	v_add_co_ci_u32_e64 v34, s0, v10, v5, s0
	v_mov_b32_e32 v7, v14
	v_add_co_u32 v0, s0, v33, v0
	v_add_co_ci_u32_e64 v1, s0, v34, v1, s0
	v_add_co_u32 v4, s0, v33, v2
	v_lshlrev_b64 v[6:7], 4, v[6:7]
	v_add_co_ci_u32_e64 v5, s0, v34, v3, s0
	v_mov_b32_e32 v9, v11
	s_clause 0x1
	global_load_dwordx4 v[0:3], v[0:1], off
	global_load_dwordx4 v[12:15], v[4:5], off
	v_add_co_u32 v4, s0, v33, v6
	v_add_co_ci_u32_e64 v5, s0, v34, v7, s0
	v_lshlrev_b64 v[7:8], 4, v[8:9]
	v_mov_b32_e32 v6, v25
	v_add_nc_u32_e32 v18, 0xc6, v56
	v_add_nc_u32_e32 v35, 0xe7, v56
	;; [unrolled: 1-line block ×3, first 2 shown]
	v_mad_u64_u32 v[9:10], null, s21, v17, v[6:7]
	v_mad_u64_u32 v[10:11], null, s20, v16, 0
	;; [unrolled: 1-line block ×3, first 2 shown]
	v_add_co_u32 v6, s0, v33, v7
	v_add_co_ci_u32_e64 v7, s0, v34, v8, s0
	v_mov_b32_e32 v25, v9
	v_mov_b32_e32 v8, v11
	;; [unrolled: 1-line block ×3, first 2 shown]
	v_mad_u64_u32 v[28:29], null, s20, v35, 0
	v_mad_u64_u32 v[30:31], null, s21, v16, v[8:9]
	;; [unrolled: 1-line block ×4, first 2 shown]
	s_clause 0x1
	global_load_dwordx4 v[20:23], v[4:5], off
	global_load_dwordx4 v[16:19], v[6:7], off
	v_lshlrev_b64 v[5:6], 4, v[24:25]
	v_mov_b32_e32 v4, v29
	v_mov_b32_e32 v11, v30
	;; [unrolled: 1-line block ×3, first 2 shown]
	v_mad_u64_u32 v[7:8], null, s21, v35, v[4:5]
	v_mov_b32_e32 v4, v32
	v_add_co_u32 v5, s0, v33, v5
	v_lshlrev_b64 v[8:9], 4, v[10:11]
	v_lshlrev_b64 v[24:25], 4, v[26:27]
	v_add_co_ci_u32_e64 v6, s0, v34, v6, s0
	v_mad_u64_u32 v[10:11], null, s21, v39, v[4:5]
	v_mov_b32_e32 v29, v7
	v_add_co_u32 v26, s0, v33, v8
	v_add_co_ci_u32_e64 v27, s0, v34, v9, s0
	v_lshlrev_b64 v[7:8], 4, v[28:29]
	v_mov_b32_e32 v32, v10
	v_add_co_u32 v24, s0, v33, v24
	v_add_co_ci_u32_e64 v25, s0, v34, v25, s0
	v_lshlrev_b64 v[9:10], 4, v[31:32]
	v_add_co_u32 v28, s0, v33, v7
	v_add_co_ci_u32_e64 v29, s0, v34, v8, s0
	v_add_co_u32 v32, s0, v33, v9
	v_add_co_ci_u32_e64 v33, s0, v34, v10, s0
	s_clause 0x4
	global_load_dwordx4 v[8:11], v[5:6], off
	global_load_dwordx4 v[4:7], v[26:27], off
	;; [unrolled: 1-line block ×5, first 2 shown]
.LBB0_12:
	s_or_b32 exec_lo, exec_lo, s1
	s_waitcnt vmcnt(0)
	v_add_f64 v[44:45], v[32:33], v[12:13]
	v_add_f64 v[46:47], v[4:5], v[8:9]
	v_add_f64 v[48:49], v[28:29], v[20:21]
	v_add_f64 v[12:13], v[12:13], -v[32:33]
	v_add_f64 v[32:33], v[14:15], -v[34:35]
	;; [unrolled: 1-line block ×3, first 2 shown]
	v_add_f64 v[14:15], v[34:35], v[14:15]
	v_add_f64 v[34:35], v[30:31], v[22:23]
	v_add_f64 v[22:23], v[22:23], -v[30:31]
	v_add_f64 v[30:31], v[6:7], v[10:11]
	v_add_f64 v[54:55], v[8:9], -v[4:5]
	v_mul_hi_u32 v39, 0x24924925, v36
	s_mov_b32 s0, 0xa2cf5039
	s_mov_b32 s16, 0x8c811c17
	;; [unrolled: 1-line block ×6, first 2 shown]
	v_add_f64 v[69:70], v[26:27], v[18:19]
	v_add_f64 v[18:19], v[18:19], -v[26:27]
	v_sub_nc_u32_e32 v26, v36, v39
	v_add_f64 v[20:21], v[20:21], -v[28:29]
	v_fma_f64 v[57:58], v[44:45], s[0:1], v[0:1]
	v_fma_f64 v[59:60], v[46:47], s[0:1], v[0:1]
	;; [unrolled: 1-line block ×3, first 2 shown]
	v_mul_f64 v[63:64], v[12:13], s[14:15]
	v_mul_f64 v[65:66], v[32:33], s[14:15]
	v_mul_f64 v[67:68], v[50:51], s[16:17]
	s_mov_b32 s15, 0xbfe491b7
	v_lshrrev_b32_e32 v79, 1, v26
	v_mul_f64 v[71:72], v[50:51], s[14:15]
	v_fma_f64 v[28:29], v[14:15], s[0:1], v[2:3]
	v_mul_f64 v[26:27], v[54:55], s[16:17]
	v_fma_f64 v[73:74], v[30:31], s[0:1], v[2:3]
	v_fma_f64 v[75:76], v[34:35], s[0:1], v[2:3]
	v_mul_f64 v[77:78], v[54:55], s[14:15]
	s_mov_b32 s18, 0x7e0b738b
	s_mov_b32 s19, 0x3fc63a1a
	v_add_f64 v[52:53], v[24:25], v[16:17]
	v_add_f64 v[16:17], v[16:17], -v[24:25]
	v_add_f64 v[24:25], v[48:49], v[44:45]
	v_add_nc_u32_e32 v39, v79, v39
	v_add_f64 v[79:80], v[34:35], v[14:15]
	s_mov_b32 s7, 0x3febb67a
	v_fma_f64 v[57:58], v[48:49], s[18:19], v[57:58]
	v_fma_f64 v[59:60], v[44:45], s[18:19], v[59:60]
	;; [unrolled: 1-line block ×5, first 2 shown]
	v_fma_f64 v[67:68], v[22:23], s[14:15], -v[67:68]
	s_mov_b32 s6, 0xe8584cab
	s_mov_b32 s9, 0xbfebb67a
	v_fma_f64 v[71:72], v[32:33], s[16:17], v[71:72]
	v_fma_f64 v[28:29], v[34:35], s[18:19], v[28:29]
	v_fma_f64 v[26:27], v[20:21], s[14:15], -v[26:27]
	v_fma_f64 v[73:74], v[14:15], s[18:19], v[73:74]
	v_fma_f64 v[75:76], v[30:31], s[18:19], v[75:76]
	;; [unrolled: 1-line block ×3, first 2 shown]
	s_mov_b32 s8, s6
	v_add_f64 v[83:84], v[50:51], v[32:33]
	v_add_f64 v[81:82], v[52:53], v[0:1]
	s_mov_b32 s0, 0x42522d1b
	v_add_f64 v[85:86], v[52:53], v[24:25]
	v_add_f64 v[24:25], v[46:47], v[24:25]
	v_add_f64 v[87:88], v[69:70], v[79:80]
	v_add_f64 v[79:80], v[30:31], v[79:80]
	v_fma_f64 v[57:58], v[52:53], -0.5, v[57:58]
	v_fma_f64 v[59:60], v[52:53], -0.5, v[59:60]
	;; [unrolled: 1-line block ×3, first 2 shown]
	v_fma_f64 v[63:64], v[16:17], s[6:7], v[63:64]
	v_fma_f64 v[61:62], v[18:19], s[6:7], v[65:66]
	;; [unrolled: 1-line block ×3, first 2 shown]
	v_add_f64 v[65:66], v[69:70], v[2:3]
	s_mov_b32 s14, 0x748a0bf8
	v_fma_f64 v[18:19], v[18:19], s[8:9], v[71:72]
	v_fma_f64 v[28:29], v[69:70], -0.5, v[28:29]
	v_fma_f64 v[26:27], v[16:17], s[6:7], v[26:27]
	v_fma_f64 v[73:74], v[69:70], -0.5, v[73:74]
	v_fma_f64 v[69:70], v[69:70], -0.5, v[75:76]
	v_add_f64 v[71:72], v[54:55], v[12:13]
	v_fma_f64 v[16:17], v[16:17], s[8:9], v[77:78]
	s_mov_b32 s1, 0xbfee11f6
	s_mov_b32 s15, 0x3fd5e3a8
	v_add_f64 v[83:84], v[83:84], -v[22:23]
	v_add_f64 v[8:9], v[8:9], v[85:86]
	v_fma_f64 v[24:25], v[24:25], -0.5, v[81:82]
	v_add_f64 v[10:11], v[10:11], v[87:88]
	v_lshrrev_b32_e32 v39, 2, v39
	v_fma_f64 v[46:47], v[46:47], s[0:1], v[57:58]
	v_fma_f64 v[48:49], v[48:49], s[0:1], v[59:60]
	;; [unrolled: 1-line block ×6, first 2 shown]
	v_fma_f64 v[52:53], v[79:80], -0.5, v[65:66]
	v_mul_lo_u32 v39, v39, 7
	v_fma_f64 v[18:19], v[22:23], s[14:15], v[18:19]
	v_fma_f64 v[28:29], v[30:31], s[0:1], v[28:29]
	;; [unrolled: 1-line block ×5, first 2 shown]
	v_add_f64 v[22:23], v[71:72], -v[20:21]
	v_fma_f64 v[16:17], v[20:21], s[14:15], v[16:17]
	v_sub_nc_u32_e32 v36, v36, v39
	s_load_dwordx2 s[4:5], s[4:5], 0x0
	v_mul_f64 v[57:58], v[83:84], s[6:7]
	v_add_f64 v[4:5], v[4:5], v[8:9]
	v_fma_f64 v[20:21], v[83:84], s[6:7], v[24:25]
	v_add_f64 v[6:7], v[6:7], v[10:11]
	v_mul_u32_u24_e32 v8, 0x129, v36
	v_and_b32_e32 v36, 0xff, v56
	v_and_b32_e32 v11, 0xff, v37
	v_cmp_gt_u32_e64 s0, 27, v56
	v_add_f64 v[26:27], v[50:51], v[46:47]
	v_add_f64 v[24:25], v[32:33], v[44:45]
	v_lshlrev_b32_e32 v85, 3, v8
	v_mul_lo_u16 v36, v36, 57
	v_add_f64 v[34:35], v[18:19], v[48:49]
	v_add_f64 v[28:29], v[28:29], -v[54:55]
	v_lshlrev_b32_e32 v8, 6, v56
	v_add_nc_u32_e32 v39, 0, v85
	v_add_f64 v[14:15], v[14:15], -v[12:13]
	v_mul_f64 v[44:45], v[22:23], s[6:7]
	v_fma_f64 v[22:23], v[22:23], s[8:9], v[52:53]
	v_add_f64 v[30:31], v[30:31], -v[16:17]
	v_mad_u32_u24 v52, 0x48, v56, v39
	v_and_b32_e32 v53, 0xff, v38
	v_add_f64 v[0:1], v[0:1], v[4:5]
	v_fma_f64 v[4:5], v[57:58], -2.0, v[20:21]
	v_add_f64 v[46:47], v[2:3], v[6:7]
	v_mul_lo_u16 v59, v11, 57
	v_lshrrev_b16 v86, 9, v36
	v_sub_nc_u32_e32 v57, v52, v8
	v_lshl_add_u32 v58, v56, 3, v39
	v_lshl_add_u32 v87, v37, 3, v39
	v_lshrrev_b16 v89, 9, v59
	v_fma_f64 v[9:10], v[32:33], -2.0, v[24:25]
	v_fma_f64 v[32:33], v[50:51], -2.0, v[26:27]
	v_add_nc_u32_e32 v8, 0x400, v57
	v_fma_f64 v[18:19], v[18:19], -2.0, v[34:35]
	v_fma_f64 v[48:49], v[54:55], 2.0, v[28:29]
	v_lshl_add_u32 v88, v38, 3, v39
	s_mov_b32 s6, 0xe8584caa
	v_fma_f64 v[50:51], v[12:13], 2.0, v[14:15]
	v_mul_lo_u16 v13, v86, 9
	v_fma_f64 v[44:45], v[44:45], 2.0, v[22:23]
	v_fma_f64 v[16:17], v[16:17], 2.0, v[30:31]
	s_mov_b32 s8, s6
	ds_write2_b64 v52, v[0:1], v[26:27] offset1:1
	v_sub_nc_u16 v91, v56, v13
	v_mul_lo_u16 v13, v89, 9
	ds_write2_b64 v52, v[34:35], v[20:21] offset0:2 offset1:3
	ds_write2_b64 v52, v[24:25], v[9:10] offset0:4 offset1:5
	ds_write_b64 v52, v[32:33] offset:64
	ds_write2_b64 v52, v[4:5], v[18:19] offset0:6 offset1:7
	v_mul_lo_u16 v18, v53, 57
	s_waitcnt lgkmcnt(0)
	s_barrier
	buffer_gl0_inv
	ds_read2_b64 v[0:3], v57 offset0:99 offset1:132
	ds_read2_b64 v[4:7], v57 offset0:165 offset1:198
	;; [unrolled: 1-line block ×3, first 2 shown]
	ds_read_b64 v[67:68], v58
	ds_read_b64 v[69:70], v87
	;; [unrolled: 1-line block ×3, first 2 shown]
	v_lshrrev_b16 v90, 9, v18
	s_waitcnt lgkmcnt(0)
	s_barrier
	buffer_gl0_inv
	ds_write2_b64 v52, v[46:47], v[28:29] offset1:1
	ds_write2_b64 v52, v[30:31], v[22:23] offset0:2 offset1:3
	ds_write2_b64 v52, v[14:15], v[50:51] offset0:4 offset1:5
	v_mul_lo_u16 v14, v90, 9
	v_mov_b32_e32 v18, 5
	v_sub_nc_u16 v92, v37, v13
	ds_write2_b64 v52, v[44:45], v[16:17] offset0:6 offset1:7
	ds_write_b64 v52, v[48:49] offset:64
	s_waitcnt lgkmcnt(0)
	v_sub_nc_u16 v93, v38, v14
	v_lshlrev_b32_sdwa v17, v18, v91 dst_sel:DWORD dst_unused:UNUSED_PAD src0_sel:DWORD src1_sel:BYTE_0
	v_lshlrev_b32_sdwa v22, v18, v92 dst_sel:DWORD dst_unused:UNUSED_PAD src0_sel:DWORD src1_sel:BYTE_0
	s_barrier
	buffer_gl0_inv
	v_lshlrev_b32_sdwa v23, v18, v93 dst_sel:DWORD dst_unused:UNUSED_PAD src0_sel:DWORD src1_sel:BYTE_0
	s_clause 0x5
	global_load_dwordx4 v[13:16], v17, s[12:13]
	global_load_dwordx4 v[18:21], v17, s[12:13] offset:16
	global_load_dwordx4 v[30:33], v22, s[12:13]
	global_load_dwordx4 v[34:37], v22, s[12:13] offset:16
	global_load_dwordx4 v[44:47], v23, s[12:13]
	global_load_dwordx4 v[48:51], v23, s[12:13] offset:16
	ds_read2_b64 v[52:55], v57 offset0:99 offset1:132
	ds_read2_b64 v[59:62], v57 offset0:165 offset1:198
	ds_read2_b64 v[63:66], v8 offset0:103 offset1:136
	s_waitcnt vmcnt(5) lgkmcnt(2)
	v_mul_f64 v[22:23], v[52:53], v[15:16]
	s_waitcnt vmcnt(4) lgkmcnt(1)
	v_mul_f64 v[24:25], v[61:62], v[20:21]
	s_waitcnt vmcnt(3)
	v_mul_f64 v[38:39], v[54:55], v[32:33]
	s_waitcnt vmcnt(2) lgkmcnt(0)
	v_mul_f64 v[73:74], v[63:64], v[36:37]
	s_waitcnt vmcnt(1)
	v_mul_f64 v[75:76], v[59:60], v[46:47]
	s_waitcnt vmcnt(0)
	v_mul_f64 v[77:78], v[65:66], v[50:51]
	v_mul_f64 v[79:80], v[0:1], v[15:16]
	;; [unrolled: 1-line block ×7, first 2 shown]
	v_fma_f64 v[26:27], v[0:1], v[13:14], -v[22:23]
	v_fma_f64 v[28:29], v[6:7], v[18:19], -v[24:25]
	v_fma_f64 v[20:21], v[2:3], v[30:31], -v[38:39]
	v_fma_f64 v[24:25], v[9:10], v[34:35], -v[73:74]
	v_fma_f64 v[16:17], v[4:5], v[44:45], -v[75:76]
	v_fma_f64 v[22:23], v[11:12], v[48:49], -v[77:78]
	v_fma_f64 v[36:37], v[52:53], v[13:14], v[79:80]
	v_fma_f64 v[38:39], v[54:55], v[30:31], v[32:33]
	;; [unrolled: 1-line block ×6, first 2 shown]
	v_mov_b32_e32 v61, 3
	v_and_b32_e32 v62, 0xffff, v89
	v_and_b32_e32 v63, 0xffff, v90
	v_add_f64 v[6:7], v[67:68], v[26:27]
	v_add_f64 v[0:1], v[26:27], v[28:29]
	;; [unrolled: 1-line block ×6, first 2 shown]
	v_add_f64 v[9:10], v[36:37], -v[18:19]
	v_add_f64 v[50:51], v[38:39], -v[30:31]
	;; [unrolled: 1-line block ×3, first 2 shown]
	v_add_f64 v[44:45], v[6:7], v[28:29]
	v_fma_f64 v[32:33], v[0:1], -0.5, v[67:68]
	v_and_b32_e32 v0, 0xffff, v86
	v_fma_f64 v[52:53], v[2:3], -0.5, v[69:70]
	v_add_f64 v[34:35], v[13:14], v[22:23]
	v_fma_f64 v[59:60], v[4:5], -0.5, v[71:72]
	v_mad_u32_u24 v64, 0xd8, v0, 0
	v_add_f64 v[0:1], v[11:12], v[24:25]
	v_lshlrev_b32_sdwa v11, v61, v91 dst_sel:DWORD dst_unused:UNUSED_PAD src0_sel:DWORD src1_sel:BYTE_0
	v_fma_f64 v[12:13], v[9:10], s[6:7], v[32:33]
	v_fma_f64 v[14:15], v[9:10], s[8:9], v[32:33]
	;; [unrolled: 1-line block ×6, first 2 shown]
	ds_read_b64 v[54:55], v58
	ds_read_b64 v[52:53], v87
	;; [unrolled: 1-line block ×3, first 2 shown]
	v_mad_u32_u24 v9, 0xd8, v62, 0
	v_mad_u32_u24 v10, 0xd8, v63, 0
	v_lshlrev_b32_sdwa v59, v61, v92 dst_sel:DWORD dst_unused:UNUSED_PAD src0_sel:DWORD src1_sel:BYTE_0
	v_lshlrev_b32_sdwa v62, v61, v93 dst_sel:DWORD dst_unused:UNUSED_PAD src0_sel:DWORD src1_sel:BYTE_0
	v_add3_u32 v61, v64, v11, v85
	s_waitcnt lgkmcnt(0)
	s_barrier
	v_add3_u32 v60, v9, v59, v85
	v_add3_u32 v59, v10, v62, v85
	buffer_gl0_inv
	ds_write2_b64 v61, v[44:45], v[12:13] offset1:9
	ds_write_b64 v61, v[14:15] offset:144
	ds_write2_b64 v60, v[0:1], v[2:3] offset1:9
	ds_write_b64 v60, v[32:33] offset:144
	ds_write2_b64 v59, v[34:35], v[4:5] offset1:9
	ds_write_b64 v59, v[6:7] offset:144
	s_waitcnt lgkmcnt(0)
	s_barrier
	buffer_gl0_inv
                                        ; implicit-def: $vgpr10_vgpr11
	s_and_saveexec_b32 s1, s0
	s_cbranch_execz .LBB0_14
; %bb.13:
	ds_read_b64 v[44:45], v58
	ds_read2_b64 v[12:15], v57 offset0:27 offset1:54
	ds_read2_b64 v[0:3], v57 offset0:81 offset1:108
	;; [unrolled: 1-line block ×5, first 2 shown]
.LBB0_14:
	s_or_b32 exec_lo, exec_lo, s1
	v_add_f64 v[62:63], v[36:37], v[18:19]
	v_add_f64 v[64:65], v[38:39], v[30:31]
	;; [unrolled: 1-line block ×4, first 2 shown]
	v_add_f64 v[26:27], v[26:27], -v[28:29]
	v_add_f64 v[28:29], v[52:53], v[38:39]
	v_add_f64 v[38:39], v[50:51], v[46:47]
	v_add_f64 v[24:25], v[20:21], -v[24:25]
	s_waitcnt lgkmcnt(0)
	s_barrier
	buffer_gl0_inv
	v_fma_f64 v[54:55], v[62:63], -0.5, v[54:55]
	v_fma_f64 v[52:53], v[64:65], -0.5, v[52:53]
	v_add_f64 v[62:63], v[16:17], -v[22:23]
	v_fma_f64 v[50:51], v[66:67], -0.5, v[50:51]
	v_add_f64 v[46:47], v[36:37], v[18:19]
	v_add_f64 v[20:21], v[28:29], v[30:31]
	;; [unrolled: 1-line block ×3, first 2 shown]
	v_fma_f64 v[28:29], v[26:27], s[8:9], v[54:55]
	v_fma_f64 v[30:31], v[26:27], s[6:7], v[54:55]
	;; [unrolled: 1-line block ×6, first 2 shown]
                                        ; implicit-def: $vgpr26_vgpr27
	ds_write2_b64 v61, v[46:47], v[28:29] offset1:9
	ds_write_b64 v61, v[30:31] offset:144
	ds_write2_b64 v60, v[20:21], v[22:23] offset1:9
	ds_write_b64 v60, v[36:37] offset:144
	;; [unrolled: 2-line block ×3, first 2 shown]
	s_waitcnt lgkmcnt(0)
	s_barrier
	buffer_gl0_inv
	s_and_saveexec_b32 s1, s0
	s_cbranch_execz .LBB0_16
; %bb.15:
	v_add_nc_u32_e32 v24, 0x400, v57
	ds_read_b64 v[46:47], v58
	ds_read2_b64 v[28:31], v57 offset0:27 offset1:54
	ds_read2_b64 v[20:23], v57 offset0:81 offset1:108
	;; [unrolled: 1-line block ×5, first 2 shown]
.LBB0_16:
	s_or_b32 exec_lo, exec_lo, s1
	v_cmp_gt_u32_e64 s1, 27, v56
	s_and_b32 s1, vcc_lo, s1
	s_and_saveexec_b32 s6, s1
	s_cbranch_execz .LBB0_18
; %bb.17:
	v_subrev_nc_u32_e32 v48, 27, v56
	v_mov_b32_e32 v49, 0
	s_mov_b32 s8, 0xd9c712b6
	s_mov_b32 s9, 0x3fda9628
	;; [unrolled: 1-line block ×3, first 2 shown]
	v_cndmask_b32_e64 v48, v48, v56, s0
	s_mov_b32 s0, 0x8764f0ba
	s_mov_b32 s1, 0x3feaeb8c
	;; [unrolled: 1-line block ×4, first 2 shown]
	v_mul_i32_i24_e32 v48, 10, v48
	s_mov_b32 s7, 0xbfc2375f
	s_mov_b32 s16, 0x43842ef
	;; [unrolled: 1-line block ×4, first 2 shown]
	v_lshlrev_b64 v[48:49], 4, v[48:49]
	s_mov_b32 s19, 0x3fe82f19
	s_mov_b32 s31, 0xbfe82f19
	;; [unrolled: 1-line block ×5, first 2 shown]
	v_add_co_u32 v54, vcc_lo, s12, v48
	v_add_co_ci_u32_e32 v55, vcc_lo, s13, v49, vcc_lo
	s_mov_b32 s12, 0x7f775887
	s_mov_b32 s13, 0xbfe4f49e
	;; [unrolled: 1-line block ×3, first 2 shown]
	s_clause 0x1
	global_load_dwordx4 v[50:53], v[54:55], off offset:352
	global_load_dwordx4 v[57:60], v[54:55], off offset:368
	s_mov_b32 s21, 0x3fd207e7
	s_mov_b32 s25, 0xbfd207e7
	;; [unrolled: 1-line block ×3, first 2 shown]
	v_add_nc_u32_e32 v73, 27, v56
	s_mov_b32 s27, 0x3fe14ced
	v_add_nc_u32_e32 v93, 54, v56
	s_mov_b32 s29, 0x3fed1bb4
	s_mov_b32 s28, s22
	v_add_nc_u32_e32 v113, 0x51, v56
	v_add_nc_u32_e32 v133, 0x6c, v56
	s_waitcnt vmcnt(1) lgkmcnt(2)
	v_mul_f64 v[48:49], v[36:37], v[50:51]
	v_mul_f64 v[36:37], v[36:37], v[52:53]
	v_fma_f64 v[48:49], v[32:33], v[52:53], v[48:49]
	v_fma_f64 v[32:33], v[32:33], v[50:51], -v[36:37]
	s_waitcnt vmcnt(0)
	v_mul_f64 v[36:37], v[38:39], v[57:58]
	v_mul_f64 v[38:39], v[38:39], v[59:60]
	v_fma_f64 v[36:37], v[34:35], v[59:60], v[36:37]
	v_fma_f64 v[34:35], v[34:35], v[57:58], -v[38:39]
	s_clause 0x1
	global_load_dwordx4 v[50:53], v[54:55], off offset:304
	global_load_dwordx4 v[57:60], v[54:55], off offset:288
	s_waitcnt vmcnt(1)
	v_mul_f64 v[38:39], v[30:31], v[50:51]
	v_mul_f64 v[30:31], v[30:31], v[52:53]
	v_fma_f64 v[38:39], v[14:15], v[52:53], v[38:39]
	v_fma_f64 v[14:15], v[14:15], v[50:51], -v[30:31]
	s_waitcnt vmcnt(0)
	v_mul_f64 v[30:31], v[28:29], v[57:58]
	v_mul_f64 v[50:51], v[28:29], v[59:60]
	v_fma_f64 v[28:29], v[12:13], v[59:60], v[30:31]
	v_fma_f64 v[12:13], v[12:13], v[57:58], -v[50:51]
	s_clause 0x1
	global_load_dwordx4 v[50:53], v[54:55], off offset:432
	global_load_dwordx4 v[57:60], v[54:55], off offset:416
	s_waitcnt vmcnt(1) lgkmcnt(0)
	v_mul_f64 v[30:31], v[26:27], v[50:51]
	v_mul_f64 v[26:27], v[26:27], v[52:53]
	v_fma_f64 v[30:31], v[10:11], v[52:53], v[30:31]
	v_fma_f64 v[10:11], v[10:11], v[50:51], -v[26:27]
	s_waitcnt vmcnt(0)
	v_mul_f64 v[26:27], v[24:25], v[57:58]
	v_mul_f64 v[50:51], v[24:25], v[59:60]
	v_fma_f64 v[24:25], v[8:9], v[59:60], v[26:27]
	v_fma_f64 v[26:27], v[8:9], v[57:58], -v[50:51]
	s_clause 0x1
	global_load_dwordx4 v[50:53], v[54:55], off offset:336
	global_load_dwordx4 v[57:60], v[54:55], off offset:320
	s_waitcnt vmcnt(1)
	v_mul_f64 v[8:9], v[22:23], v[50:51]
	v_mul_f64 v[22:23], v[22:23], v[52:53]
	v_fma_f64 v[8:9], v[2:3], v[52:53], v[8:9]
	v_fma_f64 v[22:23], v[2:3], v[50:51], -v[22:23]
	s_waitcnt vmcnt(0)
	v_mul_f64 v[2:3], v[20:21], v[57:58]
	v_mul_f64 v[50:51], v[20:21], v[59:60]
	v_fma_f64 v[20:21], v[0:1], v[59:60], v[2:3]
	v_fma_f64 v[50:51], v[0:1], v[57:58], -v[50:51]
	s_clause 0x1
	global_load_dwordx4 v[0:3], v[54:55], off offset:384
	global_load_dwordx4 v[57:60], v[54:55], off offset:400
	s_waitcnt vmcnt(1)
	v_mul_f64 v[52:53], v[16:17], v[0:1]
	v_fma_f64 v[52:53], v[4:5], v[2:3], v[52:53]
	v_mul_f64 v[2:3], v[16:17], v[2:3]
	v_fma_f64 v[4:5], v[4:5], v[0:1], -v[2:3]
	s_waitcnt vmcnt(0)
	v_mul_f64 v[0:1], v[18:19], v[57:58]
	v_mul_f64 v[2:3], v[18:19], v[59:60]
	v_mad_u64_u32 v[18:19], null, s4, v42, 0
	v_fma_f64 v[16:17], v[6:7], v[59:60], v[0:1]
	v_mul_lo_u32 v0, s5, v42
	v_mul_lo_u32 v1, s4, v43
	v_mad_u64_u32 v[42:43], null, s2, v56, 0
	v_fma_f64 v[6:7], v[6:7], v[57:58], -v[2:3]
	v_add_f64 v[2:3], v[44:45], v[12:13]
	s_mov_b32 s4, 0xf8bb580b
	s_mov_b32 s5, 0xbfe14ced
	s_mov_b32 s26, s4
	v_add3_u32 v19, v19, v1, v0
	v_mov_b32_e32 v0, v43
	v_lshlrev_b64 v[18:19], 4, v[18:19]
	v_mad_u64_u32 v[0:1], null, s3, v56, v[0:1]
	v_mov_b32_e32 v43, v0
	v_add_f64 v[0:1], v[46:47], v[28:29]
	v_add_f64 v[2:3], v[14:15], v[2:3]
	;; [unrolled: 1-line block ×19, first 2 shown]
	v_add_co_u32 v54, vcc_lo, s10, v18
	v_add_co_ci_u32_e32 v55, vcc_lo, s11, v19, vcc_lo
	v_lshlrev_b64 v[18:19], 4, v[40:41]
	v_lshlrev_b64 v[40:41], 4, v[42:43]
	v_add_f64 v[42:43], v[50:51], v[6:7]
	s_mov_b32 s11, 0xbfefac9e
	s_mov_b32 s10, s16
	v_add_co_u32 v18, vcc_lo, v54, v18
	v_add_co_ci_u32_e32 v19, vcc_lo, v55, v19, vcc_lo
	v_add_co_u32 v40, vcc_lo, v18, v40
	v_add_co_ci_u32_e32 v41, vcc_lo, v19, v41, vcc_lo
	global_store_dwordx4 v[40:41], v[0:3], off
	v_add_f64 v[40:41], v[28:29], v[30:31]
	v_add_f64 v[28:29], v[28:29], -v[30:31]
	v_add_f64 v[30:31], v[12:13], -v[10:11]
	v_add_f64 v[10:11], v[12:13], v[10:11]
	v_add_f64 v[12:13], v[38:39], v[24:25]
	v_add_f64 v[24:25], v[38:39], -v[24:25]
	v_add_f64 v[38:39], v[14:15], -v[26:27]
	v_add_f64 v[14:15], v[14:15], v[26:27]
	v_add_f64 v[26:27], v[20:21], v[16:17]
	v_add_f64 v[16:17], v[20:21], -v[16:17]
	v_add_f64 v[20:21], v[50:51], -v[6:7]
	;; [unrolled: 1-line block ×3, first 2 shown]
	v_add_f64 v[22:23], v[22:23], v[4:5]
	v_add_f64 v[4:5], v[48:49], v[36:37]
	v_add_f64 v[36:37], v[48:49], -v[36:37]
	v_add_f64 v[48:49], v[32:33], -v[34:35]
	v_add_f64 v[32:33], v[32:33], v[34:35]
	v_add_f64 v[6:7], v[8:9], v[52:53]
	v_add_f64 v[8:9], v[8:9], -v[52:53]
	v_mul_f64 v[34:35], v[40:41], s[0:1]
	v_mul_f64 v[54:55], v[28:29], s[4:5]
	v_mul_f64 v[75:76], v[28:29], s[22:23]
	v_mul_f64 v[95:96], v[28:29], s[10:11]
	v_mul_f64 v[52:53], v[12:13], s[8:9]
	v_mul_f64 v[57:58], v[24:25], s[22:23]
	v_mul_f64 v[77:78], v[24:25], s[30:31]
	v_mul_f64 v[97:98], v[24:25], s[20:21]
	v_mul_f64 v[115:116], v[28:29], s[30:31]
	v_mul_f64 v[117:118], v[24:25], s[16:17]
	v_mul_f64 v[28:29], v[28:29], s[24:25]
	v_mul_f64 v[24:25], v[24:25], s[26:27]
	v_mul_f64 v[69:70], v[4:5], s[14:15]
	v_mul_f64 v[71:72], v[36:37], s[24:25]
	v_mul_f64 v[89:90], v[4:5], s[0:1]
	v_mul_f64 v[91:92], v[36:37], s[26:27]
	v_mul_f64 v[109:110], v[4:5], s[12:13]
	v_mul_f64 v[111:112], v[36:37], s[30:31]
	v_mul_f64 v[129:130], v[4:5], s[8:9]
	v_mul_f64 v[131:132], v[36:37], s[28:29]
	v_mul_f64 v[4:5], v[4:5], s[6:7]
	v_fma_f64 v[0:1], v[30:31], s[4:5], v[34:35]
	v_mul_f64 v[36:37], v[36:37], s[10:11]
	v_fma_f64 v[2:3], v[38:39], s[22:23], v[52:53]
	v_fma_f64 v[59:60], v[14:15], s[8:9], -v[57:58]
	v_fma_f64 v[79:80], v[14:15], s[12:13], -v[77:78]
	;; [unrolled: 1-line block ×4, first 2 shown]
	v_add_f64 v[0:1], v[46:47], v[0:1]
	v_add_f64 v[0:1], v[2:3], v[0:1]
	v_fma_f64 v[2:3], v[10:11], s[0:1], -v[54:55]
	v_add_f64 v[2:3], v[44:45], v[2:3]
	v_add_f64 v[2:3], v[59:60], v[2:3]
	v_mul_f64 v[59:60], v[26:27], s[6:7]
	v_fma_f64 v[61:62], v[20:21], s[10:11], v[59:60]
	v_add_f64 v[0:1], v[61:62], v[0:1]
	v_mul_f64 v[61:62], v[16:17], s[10:11]
	v_fma_f64 v[63:64], v[42:43], s[6:7], -v[61:62]
	v_add_f64 v[2:3], v[63:64], v[2:3]
	v_mul_f64 v[63:64], v[6:7], s[12:13]
	v_fma_f64 v[65:66], v[50:51], s[30:31], v[63:64]
	v_add_f64 v[0:1], v[65:66], v[0:1]
	v_mul_f64 v[65:66], v[8:9], s[30:31]
	v_fma_f64 v[67:68], v[22:23], s[12:13], -v[65:66]
	v_add_f64 v[67:68], v[67:68], v[2:3]
	v_fma_f64 v[2:3], v[48:49], s[24:25], v[69:70]
	v_add_f64 v[2:3], v[2:3], v[0:1]
	v_fma_f64 v[0:1], v[32:33], s[14:15], -v[71:72]
	v_add_f64 v[0:1], v[0:1], v[67:68]
	v_mad_u64_u32 v[67:68], null, s2, v73, 0
	v_mad_u64_u32 v[73:74], null, s3, v73, v[68:69]
	v_mov_b32_e32 v68, v73
	v_mul_f64 v[73:74], v[12:13], s[12:13]
	v_lshlrev_b64 v[67:68], 4, v[67:68]
	v_add_co_u32 v67, vcc_lo, v18, v67
	v_add_co_ci_u32_e32 v68, vcc_lo, v19, v68, vcc_lo
	global_store_dwordx4 v[67:68], v[0:3], off
	v_mul_f64 v[67:68], v[40:41], s[8:9]
	v_fma_f64 v[2:3], v[38:39], s[30:31], v[73:74]
	v_fma_f64 v[0:1], v[30:31], s[22:23], v[67:68]
	v_add_f64 v[0:1], v[46:47], v[0:1]
	v_add_f64 v[0:1], v[2:3], v[0:1]
	v_fma_f64 v[2:3], v[10:11], s[8:9], -v[75:76]
	v_add_f64 v[2:3], v[44:45], v[2:3]
	v_add_f64 v[2:3], v[79:80], v[2:3]
	v_mul_f64 v[79:80], v[26:27], s[14:15]
	v_fma_f64 v[81:82], v[20:21], s[20:21], v[79:80]
	v_add_f64 v[0:1], v[81:82], v[0:1]
	v_mul_f64 v[81:82], v[16:17], s[20:21]
	v_fma_f64 v[83:84], v[42:43], s[14:15], -v[81:82]
	v_add_f64 v[2:3], v[83:84], v[2:3]
	v_mul_f64 v[83:84], v[6:7], s[6:7]
	v_fma_f64 v[85:86], v[50:51], s[16:17], v[83:84]
	v_add_f64 v[0:1], v[85:86], v[0:1]
	v_mul_f64 v[85:86], v[8:9], s[16:17]
	v_fma_f64 v[87:88], v[22:23], s[6:7], -v[85:86]
	v_add_f64 v[87:88], v[87:88], v[2:3]
	v_fma_f64 v[2:3], v[48:49], s[26:27], v[89:90]
	v_add_f64 v[2:3], v[2:3], v[0:1]
	v_fma_f64 v[0:1], v[32:33], s[0:1], -v[91:92]
	v_add_f64 v[0:1], v[0:1], v[87:88]
	v_mad_u64_u32 v[87:88], null, s2, v93, 0
	v_mad_u64_u32 v[93:94], null, s3, v93, v[88:89]
	v_mov_b32_e32 v88, v93
	v_mul_f64 v[93:94], v[12:13], s[14:15]
	v_lshlrev_b64 v[87:88], 4, v[87:88]
	v_add_co_u32 v87, vcc_lo, v18, v87
	v_add_co_ci_u32_e32 v88, vcc_lo, v19, v88, vcc_lo
	global_store_dwordx4 v[87:88], v[0:3], off
	v_mul_f64 v[87:88], v[40:41], s[6:7]
	v_fma_f64 v[2:3], v[38:39], s[20:21], v[93:94]
	v_fma_f64 v[0:1], v[30:31], s[10:11], v[87:88]
	v_add_f64 v[0:1], v[46:47], v[0:1]
	v_add_f64 v[0:1], v[2:3], v[0:1]
	v_fma_f64 v[2:3], v[10:11], s[6:7], -v[95:96]
	v_add_f64 v[2:3], v[44:45], v[2:3]
	v_add_f64 v[2:3], v[99:100], v[2:3]
	v_mul_f64 v[99:100], v[26:27], s[8:9]
	v_fma_f64 v[101:102], v[20:21], s[28:29], v[99:100]
	v_add_f64 v[0:1], v[101:102], v[0:1]
	v_mul_f64 v[101:102], v[16:17], s[28:29]
	v_fma_f64 v[103:104], v[42:43], s[8:9], -v[101:102]
	v_add_f64 v[2:3], v[103:104], v[2:3]
	v_mul_f64 v[103:104], v[6:7], s[0:1]
	v_fma_f64 v[105:106], v[50:51], s[4:5], v[103:104]
	v_add_f64 v[0:1], v[105:106], v[0:1]
	v_mul_f64 v[105:106], v[8:9], s[4:5]
	v_fma_f64 v[107:108], v[22:23], s[0:1], -v[105:106]
	v_add_f64 v[107:108], v[107:108], v[2:3]
	v_fma_f64 v[2:3], v[48:49], s[30:31], v[109:110]
	v_add_f64 v[2:3], v[2:3], v[0:1]
	v_fma_f64 v[0:1], v[32:33], s[12:13], -v[111:112]
	v_add_f64 v[0:1], v[0:1], v[107:108]
	v_mad_u64_u32 v[107:108], null, s2, v113, 0
	v_mad_u64_u32 v[113:114], null, s3, v113, v[108:109]
	v_mov_b32_e32 v108, v113
	v_mul_f64 v[113:114], v[12:13], s[6:7]
	v_mul_f64 v[12:13], v[12:13], s[0:1]
	v_lshlrev_b64 v[107:108], 4, v[107:108]
	v_add_co_u32 v107, vcc_lo, v18, v107
	v_add_co_ci_u32_e32 v108, vcc_lo, v19, v108, vcc_lo
	global_store_dwordx4 v[107:108], v[0:3], off
	v_mul_f64 v[107:108], v[40:41], s[12:13]
	v_mul_f64 v[40:41], v[40:41], s[14:15]
	v_fma_f64 v[2:3], v[38:39], s[16:17], v[113:114]
	v_fma_f64 v[0:1], v[30:31], s[30:31], v[107:108]
	v_add_f64 v[0:1], v[46:47], v[0:1]
	v_add_f64 v[0:1], v[2:3], v[0:1]
	v_fma_f64 v[2:3], v[10:11], s[12:13], -v[115:116]
	v_add_f64 v[2:3], v[44:45], v[2:3]
	v_add_f64 v[2:3], v[119:120], v[2:3]
	v_mul_f64 v[119:120], v[26:27], s[0:1]
	v_mul_f64 v[26:27], v[26:27], s[12:13]
	v_fma_f64 v[121:122], v[20:21], s[4:5], v[119:120]
	v_add_f64 v[0:1], v[121:122], v[0:1]
	v_mul_f64 v[121:122], v[16:17], s[4:5]
	v_mul_f64 v[16:17], v[16:17], s[30:31]
	v_fma_f64 v[123:124], v[42:43], s[0:1], -v[121:122]
	v_add_f64 v[2:3], v[123:124], v[2:3]
	v_mul_f64 v[123:124], v[6:7], s[14:15]
	v_mul_f64 v[6:7], v[6:7], s[8:9]
	v_fma_f64 v[125:126], v[50:51], s[24:25], v[123:124]
	v_add_f64 v[0:1], v[125:126], v[0:1]
	v_mul_f64 v[125:126], v[8:9], s[24:25]
	v_mul_f64 v[8:9], v[8:9], s[28:29]
	v_fma_f64 v[127:128], v[22:23], s[14:15], -v[125:126]
	v_add_f64 v[127:128], v[127:128], v[2:3]
	v_fma_f64 v[2:3], v[48:49], s[28:29], v[129:130]
	v_add_f64 v[2:3], v[2:3], v[0:1]
	v_fma_f64 v[0:1], v[32:33], s[8:9], -v[131:132]
	v_add_f64 v[0:1], v[0:1], v[127:128]
	v_mad_u64_u32 v[127:128], null, s2, v133, 0
	v_mad_u64_u32 v[133:134], null, s3, v133, v[128:129]
	v_mov_b32_e32 v128, v133
	v_add_nc_u32_e32 v133, 0x87, v56
	v_lshlrev_b64 v[127:128], 4, v[127:128]
	v_add_co_u32 v127, vcc_lo, v18, v127
	v_add_co_ci_u32_e32 v128, vcc_lo, v19, v128, vcc_lo
	global_store_dwordx4 v[127:128], v[0:3], off
	v_fma_f64 v[0:1], v[30:31], s[24:25], v[40:41]
	v_fma_f64 v[2:3], v[38:39], s[26:27], v[12:13]
	v_fma_f64 v[127:128], v[14:15], s[0:1], -v[24:25]
	v_add_f64 v[0:1], v[46:47], v[0:1]
	v_add_f64 v[0:1], v[2:3], v[0:1]
	v_fma_f64 v[2:3], v[10:11], s[14:15], -v[28:29]
	v_add_f64 v[2:3], v[44:45], v[2:3]
	v_add_f64 v[2:3], v[127:128], v[2:3]
	v_fma_f64 v[127:128], v[20:21], s[30:31], v[26:27]
	v_add_f64 v[0:1], v[127:128], v[0:1]
	v_fma_f64 v[127:128], v[42:43], s[12:13], -v[16:17]
	v_add_f64 v[2:3], v[127:128], v[2:3]
	v_fma_f64 v[127:128], v[50:51], s[28:29], v[6:7]
	v_fma_f64 v[6:7], v[50:51], s[22:23], v[6:7]
	v_add_f64 v[0:1], v[127:128], v[0:1]
	v_fma_f64 v[127:128], v[22:23], s[8:9], -v[8:9]
	v_add_f64 v[127:128], v[127:128], v[2:3]
	v_fma_f64 v[2:3], v[48:49], s[10:11], v[4:5]
	v_add_f64 v[2:3], v[2:3], v[0:1]
	v_fma_f64 v[0:1], v[32:33], s[6:7], -v[36:37]
	v_add_f64 v[0:1], v[0:1], v[127:128]
	v_mad_u64_u32 v[127:128], null, s2, v133, 0
	v_mad_u64_u32 v[133:134], null, s3, v133, v[128:129]
	v_mov_b32_e32 v128, v133
	v_lshlrev_b64 v[127:128], 4, v[127:128]
	v_add_co_u32 v127, vcc_lo, v18, v127
	v_add_co_ci_u32_e32 v128, vcc_lo, v19, v128, vcc_lo
	global_store_dwordx4 v[127:128], v[0:3], off
	v_fma_f64 v[0:1], v[30:31], s[20:21], v[40:41]
	v_fma_f64 v[2:3], v[38:39], s[4:5], v[12:13]
	v_fma_f64 v[12:13], v[14:15], s[0:1], v[24:25]
	v_fma_f64 v[24:25], v[38:39], s[18:19], v[73:74]
	v_add_f64 v[0:1], v[46:47], v[0:1]
	v_add_f64 v[0:1], v[2:3], v[0:1]
	v_fma_f64 v[2:3], v[10:11], s[14:15], v[28:29]
	v_fma_f64 v[28:29], v[14:15], s[12:13], v[77:78]
	v_add_f64 v[2:3], v[44:45], v[2:3]
	v_add_f64 v[2:3], v[12:13], v[2:3]
	v_fma_f64 v[12:13], v[20:21], s[18:19], v[26:27]
	v_fma_f64 v[26:27], v[38:39], s[28:29], v[52:53]
	v_add_f64 v[0:1], v[12:13], v[0:1]
	v_fma_f64 v[12:13], v[42:43], s[12:13], v[16:17]
	v_fma_f64 v[16:17], v[10:11], s[8:9], v[75:76]
	v_add_f64 v[0:1], v[6:7], v[0:1]
	v_add_f64 v[2:3], v[12:13], v[2:3]
	v_fma_f64 v[6:7], v[22:23], s[8:9], v[8:9]
	v_fma_f64 v[8:9], v[14:15], s[14:15], v[97:98]
	;; [unrolled: 1-line block ×3, first 2 shown]
	v_add_f64 v[16:17], v[44:45], v[16:17]
	v_add_f64 v[6:7], v[6:7], v[2:3]
	v_fma_f64 v[2:3], v[48:49], s[16:17], v[4:5]
	v_fma_f64 v[4:5], v[32:33], s[6:7], v[36:37]
	v_add_f64 v[16:17], v[28:29], v[16:17]
	v_fma_f64 v[28:29], v[42:43], s[6:7], v[61:62]
	v_add_f64 v[2:3], v[2:3], v[0:1]
	v_add_f64 v[0:1], v[4:5], v[6:7]
	v_add_nc_u32_e32 v6, 0xa2, v56
	v_mad_u64_u32 v[4:5], null, s2, v6, 0
	v_mad_u64_u32 v[5:6], null, s3, v6, v[5:6]
	v_fma_f64 v[6:7], v[32:33], s[8:9], v[131:132]
	v_lshlrev_b64 v[4:5], 4, v[4:5]
	v_add_co_u32 v4, vcc_lo, v18, v4
	v_add_co_ci_u32_e32 v5, vcc_lo, v19, v5, vcc_lo
	global_store_dwordx4 v[4:5], v[0:3], off
	v_fma_f64 v[0:1], v[30:31], s[18:19], v[107:108]
	v_fma_f64 v[2:3], v[38:39], s[10:11], v[113:114]
	;; [unrolled: 1-line block ×4, first 2 shown]
	v_add_f64 v[0:1], v[46:47], v[0:1]
	v_add_f64 v[0:1], v[2:3], v[0:1]
	v_fma_f64 v[2:3], v[10:11], s[12:13], v[115:116]
	v_add_f64 v[2:3], v[44:45], v[2:3]
	v_add_f64 v[2:3], v[4:5], v[2:3]
	v_fma_f64 v[4:5], v[20:21], s[26:27], v[119:120]
	v_add_f64 v[0:1], v[4:5], v[0:1]
	v_fma_f64 v[4:5], v[42:43], s[0:1], v[121:122]
	;; [unrolled: 2-line block ×5, first 2 shown]
	v_add_f64 v[2:3], v[2:3], v[0:1]
	v_add_f64 v[0:1], v[6:7], v[4:5]
	v_fma_f64 v[4:5], v[30:31], s[16:17], v[87:88]
	v_fma_f64 v[6:7], v[38:39], s[24:25], v[93:94]
	v_add_f64 v[4:5], v[46:47], v[4:5]
	v_add_f64 v[4:5], v[6:7], v[4:5]
	v_fma_f64 v[6:7], v[10:11], s[6:7], v[95:96]
	v_fma_f64 v[10:11], v[10:11], s[0:1], v[54:55]
	v_add_f64 v[6:7], v[44:45], v[6:7]
	v_add_f64 v[10:11], v[44:45], v[10:11]
	;; [unrolled: 1-line block ×3, first 2 shown]
	v_fma_f64 v[8:9], v[20:21], s[22:23], v[99:100]
	v_add_f64 v[10:11], v[14:15], v[10:11]
	v_fma_f64 v[14:15], v[50:51], s[10:11], v[83:84]
	v_add_f64 v[4:5], v[8:9], v[4:5]
	;; [unrolled: 2-line block ×7, first 2 shown]
	v_add_f64 v[4:5], v[12:13], v[8:9]
	v_fma_f64 v[8:9], v[30:31], s[28:29], v[67:68]
	v_fma_f64 v[12:13], v[30:31], s[26:27], v[34:35]
	;; [unrolled: 1-line block ×4, first 2 shown]
	v_add_f64 v[8:9], v[46:47], v[8:9]
	v_add_f64 v[12:13], v[46:47], v[12:13]
	;; [unrolled: 1-line block ×3, first 2 shown]
	v_fma_f64 v[24:25], v[42:43], s[14:15], v[81:82]
	v_add_f64 v[12:13], v[26:27], v[12:13]
	v_fma_f64 v[26:27], v[50:51], s[18:19], v[63:64]
	v_add_f64 v[8:9], v[30:31], v[8:9]
	v_add_f64 v[16:17], v[24:25], v[16:17]
	v_fma_f64 v[24:25], v[22:23], s[6:7], v[85:86]
	v_fma_f64 v[22:23], v[22:23], s[12:13], v[65:66]
	v_add_f64 v[12:13], v[20:21], v[12:13]
	v_fma_f64 v[20:21], v[48:49], s[4:5], v[89:90]
	v_add_f64 v[8:9], v[14:15], v[8:9]
	v_add_f64 v[14:15], v[24:25], v[16:17]
	v_fma_f64 v[16:17], v[32:33], s[0:1], v[91:92]
	v_fma_f64 v[24:25], v[32:33], s[14:15], v[71:72]
	v_add_f64 v[12:13], v[26:27], v[12:13]
	v_add_f64 v[22:23], v[22:23], v[10:11]
	v_add_nc_u32_e32 v26, 0xbd, v56
	v_add_nc_u32_e32 v27, 0xd8, v56
	v_add_f64 v[10:11], v[20:21], v[8:9]
	v_mad_u64_u32 v[20:21], null, s2, v27, 0
	v_add_f64 v[8:9], v[16:17], v[14:15]
	v_mad_u64_u32 v[16:17], null, s2, v26, 0
	v_add_f64 v[14:15], v[28:29], v[12:13]
	v_add_f64 v[12:13], v[24:25], v[22:23]
	v_mad_u64_u32 v[22:23], null, s3, v26, v[17:18]
	v_mov_b32_e32 v17, v21
	v_add_nc_u32_e32 v26, 0xf3, v56
	v_mad_u64_u32 v[23:24], null, s3, v27, v[17:18]
	v_mad_u64_u32 v[24:25], null, s2, v26, 0
	v_mov_b32_e32 v17, v22
	v_mov_b32_e32 v21, v23
	v_lshlrev_b64 v[16:17], 4, v[16:17]
	v_mov_b32_e32 v22, v25
	v_lshlrev_b64 v[20:21], 4, v[20:21]
	v_mad_u64_u32 v[22:23], null, s3, v26, v[22:23]
	v_add_nc_u32_e32 v26, 0x10e, v56
	v_add_co_u32 v16, vcc_lo, v18, v16
	v_add_co_ci_u32_e32 v17, vcc_lo, v19, v17, vcc_lo
	v_add_co_u32 v20, vcc_lo, v18, v20
	v_mov_b32_e32 v25, v22
	v_mad_u64_u32 v[22:23], null, s2, v26, 0
	v_add_co_ci_u32_e32 v21, vcc_lo, v19, v21, vcc_lo
	v_mad_u64_u32 v[26:27], null, s3, v26, v[23:24]
	v_lshlrev_b64 v[24:25], 4, v[24:25]
	v_mov_b32_e32 v23, v26
	v_add_co_u32 v24, vcc_lo, v18, v24
	v_add_co_ci_u32_e32 v25, vcc_lo, v19, v25, vcc_lo
	v_lshlrev_b64 v[22:23], 4, v[22:23]
	v_add_co_u32 v18, vcc_lo, v18, v22
	v_add_co_ci_u32_e32 v19, vcc_lo, v19, v23, vcc_lo
	global_store_dwordx4 v[16:17], v[0:3], off
	global_store_dwordx4 v[20:21], v[4:7], off
	;; [unrolled: 1-line block ×4, first 2 shown]
.LBB0_18:
	s_endpgm
	.section	.rodata,"a",@progbits
	.p2align	6, 0x0
	.amdhsa_kernel fft_rtc_fwd_len297_factors_9_3_11_wgs_231_tpt_33_halfLds_dp_op_CI_CI_sbrr_dirReg
		.amdhsa_group_segment_fixed_size 0
		.amdhsa_private_segment_fixed_size 0
		.amdhsa_kernarg_size 104
		.amdhsa_user_sgpr_count 6
		.amdhsa_user_sgpr_private_segment_buffer 1
		.amdhsa_user_sgpr_dispatch_ptr 0
		.amdhsa_user_sgpr_queue_ptr 0
		.amdhsa_user_sgpr_kernarg_segment_ptr 1
		.amdhsa_user_sgpr_dispatch_id 0
		.amdhsa_user_sgpr_flat_scratch_init 0
		.amdhsa_user_sgpr_private_segment_size 0
		.amdhsa_wavefront_size32 1
		.amdhsa_uses_dynamic_stack 0
		.amdhsa_system_sgpr_private_segment_wavefront_offset 0
		.amdhsa_system_sgpr_workgroup_id_x 1
		.amdhsa_system_sgpr_workgroup_id_y 0
		.amdhsa_system_sgpr_workgroup_id_z 0
		.amdhsa_system_sgpr_workgroup_info 0
		.amdhsa_system_vgpr_workitem_id 0
		.amdhsa_next_free_vgpr 135
		.amdhsa_next_free_sgpr 32
		.amdhsa_reserve_vcc 1
		.amdhsa_reserve_flat_scratch 0
		.amdhsa_float_round_mode_32 0
		.amdhsa_float_round_mode_16_64 0
		.amdhsa_float_denorm_mode_32 3
		.amdhsa_float_denorm_mode_16_64 3
		.amdhsa_dx10_clamp 1
		.amdhsa_ieee_mode 1
		.amdhsa_fp16_overflow 0
		.amdhsa_workgroup_processor_mode 1
		.amdhsa_memory_ordered 1
		.amdhsa_forward_progress 0
		.amdhsa_shared_vgpr_count 0
		.amdhsa_exception_fp_ieee_invalid_op 0
		.amdhsa_exception_fp_denorm_src 0
		.amdhsa_exception_fp_ieee_div_zero 0
		.amdhsa_exception_fp_ieee_overflow 0
		.amdhsa_exception_fp_ieee_underflow 0
		.amdhsa_exception_fp_ieee_inexact 0
		.amdhsa_exception_int_div_zero 0
	.end_amdhsa_kernel
	.text
.Lfunc_end0:
	.size	fft_rtc_fwd_len297_factors_9_3_11_wgs_231_tpt_33_halfLds_dp_op_CI_CI_sbrr_dirReg, .Lfunc_end0-fft_rtc_fwd_len297_factors_9_3_11_wgs_231_tpt_33_halfLds_dp_op_CI_CI_sbrr_dirReg
                                        ; -- End function
	.section	.AMDGPU.csdata,"",@progbits
; Kernel info:
; codeLenInByte = 8120
; NumSgprs: 34
; NumVgprs: 135
; ScratchSize: 0
; MemoryBound: 1
; FloatMode: 240
; IeeeMode: 1
; LDSByteSize: 0 bytes/workgroup (compile time only)
; SGPRBlocks: 4
; VGPRBlocks: 16
; NumSGPRsForWavesPerEU: 34
; NumVGPRsForWavesPerEU: 135
; Occupancy: 7
; WaveLimiterHint : 1
; COMPUTE_PGM_RSRC2:SCRATCH_EN: 0
; COMPUTE_PGM_RSRC2:USER_SGPR: 6
; COMPUTE_PGM_RSRC2:TRAP_HANDLER: 0
; COMPUTE_PGM_RSRC2:TGID_X_EN: 1
; COMPUTE_PGM_RSRC2:TGID_Y_EN: 0
; COMPUTE_PGM_RSRC2:TGID_Z_EN: 0
; COMPUTE_PGM_RSRC2:TIDIG_COMP_CNT: 0
	.text
	.p2alignl 6, 3214868480
	.fill 48, 4, 3214868480
	.type	__hip_cuid_ddb7f596cd360b25,@object ; @__hip_cuid_ddb7f596cd360b25
	.section	.bss,"aw",@nobits
	.globl	__hip_cuid_ddb7f596cd360b25
__hip_cuid_ddb7f596cd360b25:
	.byte	0                               ; 0x0
	.size	__hip_cuid_ddb7f596cd360b25, 1

	.ident	"AMD clang version 19.0.0git (https://github.com/RadeonOpenCompute/llvm-project roc-6.4.0 25133 c7fe45cf4b819c5991fe208aaa96edf142730f1d)"
	.section	".note.GNU-stack","",@progbits
	.addrsig
	.addrsig_sym __hip_cuid_ddb7f596cd360b25
	.amdgpu_metadata
---
amdhsa.kernels:
  - .args:
      - .actual_access:  read_only
        .address_space:  global
        .offset:         0
        .size:           8
        .value_kind:     global_buffer
      - .offset:         8
        .size:           8
        .value_kind:     by_value
      - .actual_access:  read_only
        .address_space:  global
        .offset:         16
        .size:           8
        .value_kind:     global_buffer
      - .actual_access:  read_only
        .address_space:  global
        .offset:         24
        .size:           8
        .value_kind:     global_buffer
      - .actual_access:  read_only
        .address_space:  global
        .offset:         32
        .size:           8
        .value_kind:     global_buffer
      - .offset:         40
        .size:           8
        .value_kind:     by_value
      - .actual_access:  read_only
        .address_space:  global
        .offset:         48
        .size:           8
        .value_kind:     global_buffer
      - .actual_access:  read_only
        .address_space:  global
        .offset:         56
        .size:           8
        .value_kind:     global_buffer
      - .offset:         64
        .size:           4
        .value_kind:     by_value
      - .actual_access:  read_only
        .address_space:  global
        .offset:         72
        .size:           8
        .value_kind:     global_buffer
      - .actual_access:  read_only
        .address_space:  global
        .offset:         80
        .size:           8
        .value_kind:     global_buffer
      - .actual_access:  read_only
        .address_space:  global
        .offset:         88
        .size:           8
        .value_kind:     global_buffer
      - .actual_access:  write_only
        .address_space:  global
        .offset:         96
        .size:           8
        .value_kind:     global_buffer
    .group_segment_fixed_size: 0
    .kernarg_segment_align: 8
    .kernarg_segment_size: 104
    .language:       OpenCL C
    .language_version:
      - 2
      - 0
    .max_flat_workgroup_size: 231
    .name:           fft_rtc_fwd_len297_factors_9_3_11_wgs_231_tpt_33_halfLds_dp_op_CI_CI_sbrr_dirReg
    .private_segment_fixed_size: 0
    .sgpr_count:     34
    .sgpr_spill_count: 0
    .symbol:         fft_rtc_fwd_len297_factors_9_3_11_wgs_231_tpt_33_halfLds_dp_op_CI_CI_sbrr_dirReg.kd
    .uniform_work_group_size: 1
    .uses_dynamic_stack: false
    .vgpr_count:     135
    .vgpr_spill_count: 0
    .wavefront_size: 32
    .workgroup_processor_mode: 1
amdhsa.target:   amdgcn-amd-amdhsa--gfx1030
amdhsa.version:
  - 1
  - 2
...

	.end_amdgpu_metadata
